;; amdgpu-corpus repo=ROCm/rocFFT kind=compiled arch=gfx950 opt=O3
	.text
	.amdgcn_target "amdgcn-amd-amdhsa--gfx950"
	.amdhsa_code_object_version 6
	.protected	fft_rtc_back_len42_factors_7_6_wgs_252_tpt_7_halfLds_dp_ip_CI_unitstride_sbrr_C2R_dirReg ; -- Begin function fft_rtc_back_len42_factors_7_6_wgs_252_tpt_7_halfLds_dp_ip_CI_unitstride_sbrr_C2R_dirReg
	.globl	fft_rtc_back_len42_factors_7_6_wgs_252_tpt_7_halfLds_dp_ip_CI_unitstride_sbrr_C2R_dirReg
	.p2align	8
	.type	fft_rtc_back_len42_factors_7_6_wgs_252_tpt_7_halfLds_dp_ip_CI_unitstride_sbrr_C2R_dirReg,@function
fft_rtc_back_len42_factors_7_6_wgs_252_tpt_7_halfLds_dp_ip_CI_unitstride_sbrr_C2R_dirReg: ; @fft_rtc_back_len42_factors_7_6_wgs_252_tpt_7_halfLds_dp_ip_CI_unitstride_sbrr_C2R_dirReg
; %bb.0:
	s_load_dwordx2 s[8:9], s[0:1], 0x50
	s_load_dwordx4 s[4:7], s[0:1], 0x0
	s_load_dwordx2 s[10:11], s[0:1], 0x18
	v_mul_u32_u24_e32 v1, 0x2493, v0
	v_lshrrev_b32_e32 v2, 16, v1
	v_mad_u64_u32 v[2:3], s[2:3], s2, 36, v[2:3]
	v_mov_b32_e32 v6, 0
	v_mov_b32_e32 v3, v6
	s_waitcnt lgkmcnt(0)
	v_cmp_lt_u64_e64 s[2:3], s[6:7], 2
	s_and_b64 vcc, exec, s[2:3]
	v_mov_b64_e32 v[4:5], 0
	v_mov_b64_e32 v[10:11], v[2:3]
	s_cbranch_vccnz .LBB0_8
; %bb.1:
	s_load_dwordx2 s[2:3], s[0:1], 0x10
	s_add_u32 s12, s10, 8
	s_addc_u32 s13, s11, 0
	s_mov_b64 s[14:15], 1
	v_mov_b64_e32 v[4:5], 0
	s_waitcnt lgkmcnt(0)
	s_add_u32 s16, s2, 8
	s_addc_u32 s17, s3, 0
	v_mov_b64_e32 v[8:9], v[2:3]
.LBB0_2:                                ; =>This Inner Loop Header: Depth=1
	s_load_dwordx2 s[18:19], s[16:17], 0x0
                                        ; implicit-def: $vgpr10_vgpr11
	s_waitcnt lgkmcnt(0)
	v_or_b32_e32 v7, s19, v9
	v_cmp_ne_u64_e32 vcc, 0, v[6:7]
	s_and_saveexec_b64 s[2:3], vcc
	s_xor_b64 s[20:21], exec, s[2:3]
	s_cbranch_execz .LBB0_4
; %bb.3:                                ;   in Loop: Header=BB0_2 Depth=1
	v_cvt_f32_u32_e32 v1, s18
	v_cvt_f32_u32_e32 v3, s19
	s_sub_u32 s2, 0, s18
	s_subb_u32 s3, 0, s19
	v_fmac_f32_e32 v1, 0x4f800000, v3
	v_rcp_f32_e32 v1, v1
	s_nop 0
	v_mul_f32_e32 v1, 0x5f7ffffc, v1
	v_mul_f32_e32 v3, 0x2f800000, v1
	v_trunc_f32_e32 v3, v3
	v_fmac_f32_e32 v1, 0xcf800000, v3
	v_cvt_u32_f32_e32 v3, v3
	v_cvt_u32_f32_e32 v1, v1
	v_mul_lo_u32 v7, s2, v3
	v_mul_hi_u32 v10, s2, v1
	v_mul_lo_u32 v11, s3, v1
	v_add_u32_e32 v7, v10, v7
	v_mul_lo_u32 v14, s2, v1
	v_add_u32_e32 v7, v7, v11
	v_mul_hi_u32 v10, v1, v14
	v_mul_hi_u32 v13, v1, v7
	v_mul_lo_u32 v12, v1, v7
	v_mov_b32_e32 v11, v6
	v_lshl_add_u64 v[10:11], v[10:11], 0, v[12:13]
	v_mul_hi_u32 v13, v3, v14
	v_mul_lo_u32 v14, v3, v14
	v_add_co_u32_e32 v10, vcc, v10, v14
	v_mul_hi_u32 v12, v3, v7
	s_nop 0
	v_addc_co_u32_e32 v10, vcc, v11, v13, vcc
	v_mov_b32_e32 v11, v6
	s_nop 0
	v_addc_co_u32_e32 v13, vcc, 0, v12, vcc
	v_mul_lo_u32 v12, v3, v7
	v_lshl_add_u64 v[10:11], v[10:11], 0, v[12:13]
	v_add_co_u32_e32 v1, vcc, v1, v10
	v_mul_hi_u32 v10, s2, v1
	s_nop 0
	v_addc_co_u32_e32 v3, vcc, v3, v11, vcc
	v_mul_lo_u32 v7, s2, v3
	v_add_u32_e32 v7, v10, v7
	v_mul_lo_u32 v10, s3, v1
	v_add_u32_e32 v7, v7, v10
	v_mul_lo_u32 v12, s2, v1
	v_mul_hi_u32 v15, v3, v12
	v_mul_lo_u32 v16, v3, v12
	v_mul_hi_u32 v11, v1, v7
	;; [unrolled: 2-line block ×3, first 2 shown]
	v_mov_b32_e32 v13, v6
	v_lshl_add_u64 v[10:11], v[12:13], 0, v[10:11]
	v_add_co_u32_e32 v10, vcc, v10, v16
	v_mul_hi_u32 v14, v3, v7
	s_nop 0
	v_addc_co_u32_e32 v10, vcc, v11, v15, vcc
	v_mul_lo_u32 v12, v3, v7
	s_nop 0
	v_addc_co_u32_e32 v13, vcc, 0, v14, vcc
	v_mov_b32_e32 v11, v6
	v_lshl_add_u64 v[10:11], v[10:11], 0, v[12:13]
	v_add_co_u32_e32 v1, vcc, v1, v10
	v_mul_hi_u32 v12, v8, v1
	s_nop 0
	v_addc_co_u32_e32 v3, vcc, v3, v11, vcc
	v_mad_u64_u32 v[10:11], s[2:3], v8, v3, 0
	v_mov_b32_e32 v13, v6
	v_lshl_add_u64 v[10:11], v[12:13], 0, v[10:11]
	v_mad_u64_u32 v[14:15], s[2:3], v9, v1, 0
	v_add_co_u32_e32 v1, vcc, v10, v14
	v_mad_u64_u32 v[12:13], s[2:3], v9, v3, 0
	s_nop 0
	v_addc_co_u32_e32 v10, vcc, v11, v15, vcc
	v_mov_b32_e32 v11, v6
	s_nop 0
	v_addc_co_u32_e32 v13, vcc, 0, v13, vcc
	v_lshl_add_u64 v[10:11], v[10:11], 0, v[12:13]
	v_mul_lo_u32 v1, s19, v10
	v_mul_lo_u32 v3, s18, v11
	v_mad_u64_u32 v[12:13], s[2:3], s18, v10, 0
	v_add3_u32 v1, v13, v3, v1
	v_sub_u32_e32 v3, v9, v1
	v_mov_b32_e32 v7, s19
	v_sub_co_u32_e32 v16, vcc, v8, v12
	v_lshl_add_u64 v[14:15], v[10:11], 0, 1
	s_nop 0
	v_subb_co_u32_e64 v3, s[2:3], v3, v7, vcc
	v_subrev_co_u32_e64 v7, s[2:3], s18, v16
	v_subb_co_u32_e32 v1, vcc, v9, v1, vcc
	s_nop 0
	v_subbrev_co_u32_e64 v3, s[2:3], 0, v3, s[2:3]
	v_cmp_le_u32_e64 s[2:3], s19, v3
	v_cmp_le_u32_e32 vcc, s19, v1
	s_nop 0
	v_cndmask_b32_e64 v12, 0, -1, s[2:3]
	v_cmp_le_u32_e64 s[2:3], s18, v7
	s_nop 1
	v_cndmask_b32_e64 v7, 0, -1, s[2:3]
	v_cmp_eq_u32_e64 s[2:3], s19, v3
	s_nop 1
	v_cndmask_b32_e64 v3, v12, v7, s[2:3]
	v_lshl_add_u64 v[12:13], v[10:11], 0, 2
	v_cmp_ne_u32_e64 s[2:3], 0, v3
	v_cndmask_b32_e64 v7, 0, -1, vcc
	v_cmp_le_u32_e32 vcc, s18, v16
	v_cndmask_b32_e64 v3, v15, v13, s[2:3]
	s_nop 0
	v_cndmask_b32_e64 v13, 0, -1, vcc
	v_cmp_eq_u32_e32 vcc, s19, v1
	s_nop 1
	v_cndmask_b32_e32 v1, v7, v13, vcc
	v_cmp_ne_u32_e32 vcc, 0, v1
	v_cndmask_b32_e64 v1, v14, v12, s[2:3]
	s_nop 0
	v_cndmask_b32_e32 v11, v11, v3, vcc
	v_cndmask_b32_e32 v10, v10, v1, vcc
.LBB0_4:                                ;   in Loop: Header=BB0_2 Depth=1
	s_andn2_saveexec_b64 s[2:3], s[20:21]
	s_cbranch_execz .LBB0_6
; %bb.5:                                ;   in Loop: Header=BB0_2 Depth=1
	v_cvt_f32_u32_e32 v1, s18
	s_sub_i32 s20, 0, s18
	v_mov_b32_e32 v11, v6
	v_rcp_iflag_f32_e32 v1, v1
	s_nop 0
	v_mul_f32_e32 v1, 0x4f7ffffe, v1
	v_cvt_u32_f32_e32 v1, v1
	v_mul_lo_u32 v3, s20, v1
	v_mul_hi_u32 v3, v1, v3
	v_add_u32_e32 v1, v1, v3
	v_mul_hi_u32 v1, v8, v1
	v_mul_lo_u32 v3, v1, s18
	v_sub_u32_e32 v3, v8, v3
	v_add_u32_e32 v7, 1, v1
	v_subrev_u32_e32 v10, s18, v3
	v_cmp_le_u32_e32 vcc, s18, v3
	s_nop 1
	v_cndmask_b32_e32 v3, v3, v10, vcc
	v_cndmask_b32_e32 v1, v1, v7, vcc
	v_add_u32_e32 v7, 1, v1
	v_cmp_le_u32_e32 vcc, s18, v3
	s_nop 1
	v_cndmask_b32_e32 v10, v1, v7, vcc
.LBB0_6:                                ;   in Loop: Header=BB0_2 Depth=1
	s_or_b64 exec, exec, s[2:3]
	v_mad_u64_u32 v[12:13], s[2:3], v10, s18, 0
	s_load_dwordx2 s[2:3], s[12:13], 0x0
	s_add_u32 s14, s14, 1
	v_mul_lo_u32 v1, v11, s18
	v_mul_lo_u32 v3, v10, s19
	s_addc_u32 s15, s15, 0
	v_add3_u32 v1, v13, v3, v1
	v_sub_co_u32_e32 v3, vcc, v8, v12
	s_add_u32 s12, s12, 8
	s_nop 0
	v_subb_co_u32_e32 v1, vcc, v9, v1, vcc
	s_addc_u32 s13, s13, 0
	v_mov_b64_e32 v[8:9], s[6:7]
	s_waitcnt lgkmcnt(0)
	v_mul_lo_u32 v1, s2, v1
	v_mul_lo_u32 v7, s3, v3
	v_mad_u64_u32 v[4:5], s[2:3], s2, v3, v[4:5]
	s_add_u32 s16, s16, 8
	v_cmp_ge_u64_e32 vcc, s[14:15], v[8:9]
	v_add3_u32 v5, v7, v5, v1
	s_addc_u32 s17, s17, 0
	s_cbranch_vccnz .LBB0_8
; %bb.7:                                ;   in Loop: Header=BB0_2 Depth=1
	v_mov_b64_e32 v[8:9], v[10:11]
	s_branch .LBB0_2
.LBB0_8:
	s_lshl_b64 s[2:3], s[6:7], 3
	s_add_u32 s2, s10, s2
	s_addc_u32 s3, s11, s3
	s_load_dwordx2 s[6:7], s[2:3], 0x0
	s_load_dwordx2 s[10:11], s[0:1], 0x20
	s_waitcnt lgkmcnt(0)
	v_mad_u64_u32 v[4:5], s[0:1], s6, v10, v[4:5]
	v_mul_lo_u32 v1, s6, v11
	v_mul_lo_u32 v3, s7, v10
	s_mov_b32 s0, 0x38e38e39
	v_add3_u32 v5, v3, v5, v1
	v_mul_hi_u32 v1, v2, s0
	v_lshrrev_b32_e32 v1, 3, v1
	v_mul_lo_u32 v1, v1, 36
	v_sub_u32_e32 v1, v2, v1
	s_mov_b32 s0, 0x24924925
	v_mul_u32_u24_e32 v12, 43, v1
	v_mul_hi_u32 v1, v0, s0
	v_mul_u32_u24_e32 v1, 7, v1
	v_cmp_gt_u64_e32 vcc, s[10:11], v[10:11]
	v_sub_u32_e32 v30, v0, v1
	v_lshl_add_u64 v[28:29], v[4:5], 4, s[8:9]
	v_lshlrev_b32_e32 v34, 4, v12
	s_and_saveexec_b64 s[2:3], vcc
	s_cbranch_execz .LBB0_12
; %bb.9:
	v_mov_b32_e32 v31, 0
	v_lshl_add_u64 v[0:1], v[30:31], 4, v[28:29]
	global_load_dwordx4 v[2:5], v[0:1], off
	global_load_dwordx4 v[6:9], v[0:1], off offset:112
	global_load_dwordx4 v[14:17], v[0:1], off offset:224
	;; [unrolled: 1-line block ×5, first 2 shown]
	v_lshlrev_b32_e32 v0, 4, v30
	v_add3_u32 v0, 0, v34, v0
	v_cmp_eq_u32_e64 s[0:1], 6, v30
	s_waitcnt vmcnt(5)
	ds_write_b128 v0, v[2:5]
	s_waitcnt vmcnt(4)
	ds_write_b128 v0, v[6:9] offset:112
	s_waitcnt vmcnt(3)
	ds_write_b128 v0, v[14:17] offset:224
	;; [unrolled: 2-line block ×5, first 2 shown]
	s_and_saveexec_b64 s[6:7], s[0:1]
	s_cbranch_execz .LBB0_11
; %bb.10:
	global_load_dwordx4 v[2:5], v[28:29], off offset:672
	v_mov_b32_e32 v30, 6
	s_waitcnt vmcnt(0)
	ds_write_b128 v0, v[2:5] offset:576
.LBB0_11:
	s_or_b64 exec, exec, s[6:7]
.LBB0_12:
	s_or_b64 exec, exec, s[2:3]
	v_lshl_add_u32 v32, v12, 4, 0
	v_lshlrev_b32_e32 v0, 4, v30
	v_add_u32_e32 v33, v32, v0
	s_waitcnt lgkmcnt(0)
	s_barrier
	v_sub_u32_e32 v10, v32, v0
	ds_read_b64 v[6:7], v33
	ds_read_b64 v[8:9], v10 offset:672
	v_cmp_ne_u32_e64 s[0:1], 0, v30
                                        ; implicit-def: $vgpr4_vgpr5
	s_waitcnt lgkmcnt(0)
	v_add_f64 v[0:1], v[6:7], v[8:9]
	v_add_f64 v[2:3], v[6:7], -v[8:9]
	s_and_saveexec_b64 s[2:3], s[0:1]
	s_xor_b64 s[0:1], exec, s[2:3]
	s_cbranch_execz .LBB0_14
; %bb.13:
	v_mov_b32_e32 v31, 0
	v_lshl_add_u64 v[0:1], v[30:31], 4, s[4:5]
	global_load_dwordx4 v[14:17], v[0:1], off offset:560
	ds_read_b64 v[0:1], v10 offset:680
	ds_read_b64 v[2:3], v33 offset:8
	v_add_f64 v[4:5], v[6:7], v[8:9]
	v_add_f64 v[8:9], v[6:7], -v[8:9]
	s_waitcnt lgkmcnt(0)
	v_add_f64 v[18:19], v[0:1], v[2:3]
	v_add_f64 v[0:1], v[2:3], -v[0:1]
	s_waitcnt vmcnt(0)
	v_fma_f64 v[20:21], v[8:9], v[16:17], v[4:5]
	v_fma_f64 v[4:5], -v[8:9], v[16:17], v[4:5]
	v_fma_f64 v[6:7], v[18:19], v[16:17], -v[0:1]
	v_fma_f64 v[2:3], v[18:19], v[16:17], v[0:1]
	v_fmac_f64_e32 v[4:5], v[18:19], v[14:15]
	v_fmac_f64_e32 v[6:7], v[8:9], v[14:15]
	v_fma_f64 v[0:1], -v[18:19], v[14:15], v[20:21]
	v_fmac_f64_e32 v[2:3], v[8:9], v[14:15]
	ds_write_b128 v10, v[4:7] offset:672
	v_mov_b64_e32 v[4:5], v[30:31]
.LBB0_14:
	s_andn2_saveexec_b64 s[0:1], s[0:1]
	s_cbranch_execz .LBB0_16
; %bb.15:
	ds_read_b128 v[4:7], v32 offset:336
	s_waitcnt lgkmcnt(0)
	v_add_f64 v[4:5], v[4:5], v[4:5]
	v_mul_f64 v[6:7], v[6:7], -2.0
	ds_write_b128 v32, v[4:7] offset:336
	v_mov_b64_e32 v[4:5], 0
.LBB0_16:
	s_or_b64 exec, exec, s[0:1]
	s_add_u32 s0, s4, 0x230
	s_addc_u32 s1, s5, 0
	v_lshl_add_u64 v[8:9], v[4:5], 4, s[0:1]
	global_load_dwordx4 v[4:7], v[8:9], off offset:112
	global_load_dwordx4 v[14:17], v[8:9], off offset:224
	ds_write_b128 v33, v[0:3]
	ds_read_b128 v[0:3], v33 offset:112
	ds_read_b128 v[18:21], v10 offset:560
	v_lshl_add_u32 v35, v30, 4, 0
	v_lshl_add_u32 v31, v12, 4, v35
	v_cmp_gt_u32_e64 s[0:1], 6, v30
	s_waitcnt lgkmcnt(0)
	v_add_f64 v[8:9], v[0:1], v[18:19]
	v_add_f64 v[22:23], v[20:21], v[2:3]
	v_add_f64 v[24:25], v[0:1], -v[18:19]
	v_add_f64 v[0:1], v[2:3], -v[20:21]
	s_waitcnt vmcnt(1)
	v_fma_f64 v[26:27], v[24:25], v[6:7], v[8:9]
	v_fma_f64 v[2:3], v[22:23], v[6:7], v[0:1]
	v_fma_f64 v[18:19], -v[24:25], v[6:7], v[8:9]
	v_fma_f64 v[20:21], v[22:23], v[6:7], -v[0:1]
	v_fma_f64 v[0:1], -v[22:23], v[4:5], v[26:27]
	v_fmac_f64_e32 v[2:3], v[24:25], v[4:5]
	v_fmac_f64_e32 v[18:19], v[22:23], v[4:5]
	;; [unrolled: 1-line block ×3, first 2 shown]
	ds_write_b128 v33, v[0:3] offset:112
	ds_write_b128 v10, v[18:21] offset:560
	ds_read_b128 v[0:3], v33 offset:224
	ds_read_b128 v[4:7], v10 offset:448
	s_waitcnt lgkmcnt(0)
	v_add_f64 v[8:9], v[0:1], v[4:5]
	v_add_f64 v[12:13], v[6:7], v[2:3]
	v_add_f64 v[18:19], v[0:1], -v[4:5]
	v_add_f64 v[0:1], v[2:3], -v[6:7]
	s_waitcnt vmcnt(0)
	v_fma_f64 v[20:21], v[18:19], v[16:17], v[8:9]
	v_fma_f64 v[2:3], v[12:13], v[16:17], v[0:1]
	v_fma_f64 v[4:5], -v[18:19], v[16:17], v[8:9]
	v_fma_f64 v[6:7], v[12:13], v[16:17], -v[0:1]
	v_fma_f64 v[0:1], -v[12:13], v[14:15], v[20:21]
	v_fmac_f64_e32 v[2:3], v[18:19], v[14:15]
	v_fmac_f64_e32 v[4:5], v[12:13], v[14:15]
	;; [unrolled: 1-line block ×3, first 2 shown]
	ds_write_b128 v33, v[0:3] offset:224
	ds_write_b128 v10, v[4:7] offset:448
	s_waitcnt lgkmcnt(0)
	s_barrier
	s_barrier
	ds_read_b128 v[8:11], v33
	ds_read_b128 v[20:23], v31 offset:96
	ds_read_b128 v[0:3], v31 offset:192
	;; [unrolled: 1-line block ×6, first 2 shown]
	s_waitcnt lgkmcnt(0)
	s_barrier
	s_and_saveexec_b64 s[2:3], s[0:1]
	s_cbranch_execz .LBB0_18
; %bb.17:
	v_add_f64 v[36:37], v[20:21], -v[24:25]
	v_add_f64 v[38:39], v[16:17], -v[12:13]
	;; [unrolled: 1-line block ×3, first 2 shown]
	s_mov_b32 s8, 0xe976ee23
	v_add_f64 v[48:49], v[22:23], v[26:27]
	v_add_f64 v[50:51], v[2:3], v[6:7]
	;; [unrolled: 1-line block ×4, first 2 shown]
	v_add_f64 v[14:15], v[18:19], -v[14:15]
	v_add_f64 v[0:1], v[0:1], v[4:5]
	v_add_f64 v[6:7], v[2:3], -v[6:7]
	v_add_f64 v[40:41], v[36:37], -v[38:39]
	v_add_f64 v[44:45], v[38:39], -v[42:43]
	s_mov_b32 s9, 0x3fe11646
	v_add_f64 v[38:39], v[38:39], v[42:43]
	v_add_f64 v[52:53], v[50:51], v[48:49]
	;; [unrolled: 1-line block ×4, first 2 shown]
	v_add_f64 v[2:3], v[14:15], -v[6:7]
	v_mul_f64 v[44:45], v[44:45], s[8:9]
	v_add_f64 v[38:39], v[38:39], v[36:37]
	v_add_f64 v[22:23], v[22:23], -v[26:27]
	v_add_f64 v[26:27], v[24:25], v[52:53]
	v_add_f64 v[4:5], v[12:13], v[4:5]
	v_mul_f64 v[54:55], v[2:3], s[8:9]
	v_add_f64 v[36:37], v[42:43], -v[36:37]
	s_mov_b32 s8, 0x429ad128
	v_add_f64 v[42:43], v[20:21], -v[12:13]
	v_add_f64 v[12:13], v[12:13], -v[0:1]
	;; [unrolled: 1-line block ×3, first 2 shown]
	v_add_f64 v[0:1], v[14:15], v[6:7]
	s_mov_b32 s7, 0xbfd5d0dc
	s_mov_b32 s6, 0xb247c609
	v_add_f64 v[10:11], v[10:11], v[26:27]
	s_mov_b32 s10, 0xaaaaaaaa
	v_add_f64 v[18:19], v[48:49], -v[24:25]
	s_mov_b32 s12, 0x37e14327
	v_add_f64 v[24:25], v[24:25], -v[50:51]
	v_add_f64 v[52:53], v[22:23], -v[14:15]
	s_mov_b32 s9, 0xbfebfeb5
	v_add_f64 v[48:49], v[50:51], -v[48:49]
	v_add_f64 v[50:51], v[0:1], v[22:23]
	v_add_f64 v[22:23], v[6:7], -v[22:23]
	v_fma_f64 v[46:47], s[6:7], v[40:41], v[44:45]
	s_mov_b32 s11, 0xbff2aaaa
	v_mov_b64_e32 v[16:17], v[10:11]
	v_add_f64 v[8:9], v[8:9], v[4:5]
	s_mov_b32 s13, 0x3fe948f6
	s_mov_b32 s14, 0x36b3c0b5
	v_fma_f64 v[56:57], s[6:7], v[52:53], v[54:55]
	v_mul_f64 v[2:3], v[36:37], s[8:9]
	s_mov_b32 s7, 0x3fd5d0dc
	v_mul_f64 v[0:1], v[22:23], s[8:9]
	v_fmac_f64_e32 v[16:17], s[10:11], v[26:27]
	v_mul_f64 v[18:19], v[18:19], s[12:13]
	s_mov_b32 s15, 0x3fac98ee
	v_mov_b64_e32 v[26:27], v[8:9]
	v_fma_f64 v[40:41], v[40:41], s[6:7], -v[2:3]
	v_mul_f64 v[42:43], v[42:43], s[12:13]
	v_fma_f64 v[52:53], v[52:53], s[6:7], -v[0:1]
	s_mov_b32 s7, 0xbfe77f67
	s_mov_b32 s6, 0x5476071b
	;; [unrolled: 1-line block ×3, first 2 shown]
	v_fmac_f64_e32 v[26:27], s[10:11], v[4:5]
	v_mul_f64 v[4:5], v[24:25], s[14:15]
	v_mul_f64 v[58:59], v[12:13], s[14:15]
	v_fma_f64 v[0:1], s[14:15], v[12:13], v[42:43]
	v_fma_f64 v[6:7], v[48:49], s[6:7], -v[18:19]
	v_fma_f64 v[12:13], v[20:21], s[6:7], -v[42:43]
	s_mov_b32 s7, 0x3fe77f67
	s_mov_b32 s1, 0xbfdc38aa
	v_fma_f64 v[24:25], s[14:15], v[24:25], v[18:19]
	v_fma_f64 v[4:5], v[48:49], s[6:7], -v[4:5]
	v_add_f64 v[42:43], v[12:13], v[26:27]
	v_fma_f64 v[18:19], v[36:37], s[8:9], -v[44:45]
	v_fma_f64 v[12:13], v[20:21], s[6:7], -v[58:59]
	;; [unrolled: 1-line block ×3, first 2 shown]
	v_mul_u32_u24_e32 v36, 0x60, v30
	v_fmac_f64_e32 v[46:47], s[0:1], v[38:39]
	v_add_f64 v[24:25], v[24:25], v[16:17]
	v_add_f64 v[60:61], v[0:1], v[26:27]
	v_fmac_f64_e32 v[56:57], s[0:1], v[50:51]
	v_fmac_f64_e32 v[40:41], s[0:1], v[38:39]
	v_add_f64 v[62:63], v[6:7], v[16:17]
	v_add_f64 v[16:17], v[4:5], v[16:17]
	v_fmac_f64_e32 v[52:53], s[0:1], v[50:51]
	v_fmac_f64_e32 v[18:19], s[0:1], v[38:39]
	v_add_f64 v[20:21], v[12:13], v[26:27]
	v_fmac_f64_e32 v[22:23], s[0:1], v[50:51]
	v_add3_u32 v34, v35, v36, v34
	v_add_f64 v[2:3], v[46:47], v[24:25]
	v_add_f64 v[0:1], v[60:61], -v[56:57]
	v_add_f64 v[6:7], v[40:41], v[62:63]
	v_add_f64 v[4:5], v[42:43], -v[52:53]
	v_add_f64 v[14:15], v[16:17], -v[18:19]
	v_add_f64 v[12:13], v[20:21], v[22:23]
	v_add_f64 v[18:19], v[18:19], v[16:17]
	v_add_f64 v[16:17], v[20:21], -v[22:23]
	v_add_f64 v[22:23], v[62:63], -v[40:41]
	v_add_f64 v[20:21], v[42:43], v[52:53]
	v_add_f64 v[26:27], v[24:25], -v[46:47]
	v_add_f64 v[24:25], v[60:61], v[56:57]
	ds_write_b128 v34, v[8:11]
	ds_write_b128 v34, v[24:27] offset:16
	ds_write_b128 v34, v[20:23] offset:32
	ds_write_b128 v34, v[16:19] offset:48
	ds_write_b128 v34, v[12:15] offset:64
	ds_write_b128 v34, v[4:7] offset:80
	ds_write_b128 v34, v[0:3] offset:96
.LBB0_18:
	s_or_b64 exec, exec, s[2:3]
	v_mul_u32_u24_e32 v0, 5, v30
	v_lshlrev_b32_e32 v20, 4, v0
	s_waitcnt lgkmcnt(0)
	s_barrier
	global_load_dwordx4 v[0:3], v20, s[4:5]
	global_load_dwordx4 v[4:7], v20, s[4:5] offset:16
	global_load_dwordx4 v[8:11], v20, s[4:5] offset:32
	;; [unrolled: 1-line block ×4, first 2 shown]
	ds_read_b128 v[20:23], v33
	ds_read_b128 v[24:27], v31 offset:112
	ds_read_b128 v[34:37], v31 offset:224
	;; [unrolled: 1-line block ×5, first 2 shown]
	s_mov_b32 s0, 0xe8584caa
	s_mov_b32 s1, 0xbfebb67a
	;; [unrolled: 1-line block ×4, first 2 shown]
	s_waitcnt lgkmcnt(0)
	s_barrier
	s_waitcnt vmcnt(4)
	v_mul_f64 v[50:51], v[26:27], v[2:3]
	v_mul_f64 v[2:3], v[24:25], v[2:3]
	s_waitcnt vmcnt(3)
	v_mul_f64 v[52:53], v[36:37], v[6:7]
	v_mul_f64 v[6:7], v[34:35], v[6:7]
	;; [unrolled: 3-line block ×4, first 2 shown]
	v_mul_f64 v[56:57], v[44:45], v[14:15]
	v_mul_f64 v[14:15], v[42:43], v[14:15]
	v_fmac_f64_e32 v[50:51], v[24:25], v[0:1]
	v_fma_f64 v[24:25], v[26:27], v[0:1], -v[2:3]
	v_fma_f64 v[0:1], v[36:37], v[4:5], -v[6:7]
	;; [unrolled: 1-line block ×4, first 2 shown]
	v_fmac_f64_e32 v[52:53], v[34:35], v[4:5]
	v_fmac_f64_e32 v[54:55], v[38:39], v[8:9]
	;; [unrolled: 1-line block ×3, first 2 shown]
	v_fma_f64 v[4:5], v[44:45], v[12:13], -v[14:15]
	v_fmac_f64_e32 v[58:59], v[46:47], v[16:17]
	v_add_f64 v[34:35], v[2:3], -v[6:7]
	v_add_f64 v[36:37], v[24:25], v[2:3]
	v_add_f64 v[2:3], v[2:3], v[6:7]
	;; [unrolled: 1-line block ×3, first 2 shown]
	v_add_f64 v[12:13], v[0:1], -v[4:5]
	v_add_f64 v[14:15], v[22:23], v[0:1]
	v_add_f64 v[0:1], v[0:1], v[4:5]
	;; [unrolled: 1-line block ×3, first 2 shown]
	v_add_f64 v[38:39], v[54:55], -v[58:59]
	v_fmac_f64_e32 v[24:25], -0.5, v[2:3]
	v_add_f64 v[8:9], v[20:21], v[52:53]
	v_add_f64 v[16:17], v[52:53], -v[56:57]
	v_add_f64 v[18:19], v[50:51], v[54:55]
	v_fmac_f64_e32 v[20:21], -0.5, v[10:11]
	v_add_f64 v[10:11], v[14:15], v[4:5]
	v_fmac_f64_e32 v[22:23], -0.5, v[0:1]
	v_fmac_f64_e32 v[50:51], -0.5, v[26:27]
	v_fma_f64 v[14:15], s[2:3], v[38:39], v[24:25]
	v_fmac_f64_e32 v[24:25], s[0:1], v[38:39]
	v_add_f64 v[8:9], v[8:9], v[56:57]
	v_add_f64 v[4:5], v[18:19], v[58:59]
	;; [unrolled: 1-line block ×3, first 2 shown]
	v_fma_f64 v[18:19], s[0:1], v[12:13], v[20:21]
	v_fmac_f64_e32 v[20:21], s[2:3], v[12:13]
	v_fma_f64 v[26:27], s[2:3], v[16:17], v[22:23]
	v_fmac_f64_e32 v[22:23], s[0:1], v[16:17]
	;; [unrolled: 2-line block ×3, first 2 shown]
	v_mul_f64 v[16:17], v[14:15], s[0:1]
	v_mul_f64 v[34:35], v[24:25], s[0:1]
	v_mul_f64 v[36:37], v[14:15], 0.5
	v_mul_f64 v[24:25], v[24:25], -0.5
	v_add_f64 v[0:1], v[8:9], v[4:5]
	v_add_f64 v[2:3], v[10:11], v[6:7]
	v_fmac_f64_e32 v[16:17], 0.5, v[12:13]
	v_fmac_f64_e32 v[34:35], -0.5, v[50:51]
	v_fmac_f64_e32 v[36:37], s[2:3], v[12:13]
	v_fmac_f64_e32 v[24:25], s[2:3], v[50:51]
	v_add_f64 v[4:5], v[8:9], -v[4:5]
	v_add_f64 v[6:7], v[10:11], -v[6:7]
	v_add_f64 v[8:9], v[18:19], v[16:17]
	v_add_f64 v[12:13], v[20:21], v[34:35]
	;; [unrolled: 1-line block ×4, first 2 shown]
	v_add_f64 v[16:17], v[18:19], -v[16:17]
	v_add_f64 v[20:21], v[20:21], -v[34:35]
	;; [unrolled: 1-line block ×4, first 2 shown]
	ds_write_b128 v31, v[0:3]
	ds_write_b128 v31, v[8:11] offset:112
	ds_write_b128 v31, v[12:15] offset:224
	;; [unrolled: 1-line block ×5, first 2 shown]
	s_waitcnt lgkmcnt(0)
	s_barrier
	s_and_saveexec_b64 s[0:1], vcc
	s_cbranch_execz .LBB0_20
; %bb.19:
	v_lshl_add_u32 v12, v30, 4, v32
	ds_read_b128 v[0:3], v12
	ds_read_b128 v[4:7], v12 offset:112
	v_mov_b32_e32 v31, 0
	v_add_u32_e32 v8, 7, v30
	v_lshl_add_u64 v[10:11], v[30:31], 4, v[28:29]
	v_mov_b32_e32 v9, v31
	s_waitcnt lgkmcnt(1)
	global_store_dwordx4 v[10:11], v[0:3], off
	s_nop 1
	v_lshl_add_u64 v[0:1], v[8:9], 4, v[28:29]
	s_waitcnt lgkmcnt(0)
	global_store_dwordx4 v[0:1], v[4:7], off
	ds_read_b128 v[0:3], v12 offset:224
	s_nop 0
	v_add_u32_e32 v4, 14, v30
	v_mov_b32_e32 v5, v31
	v_lshl_add_u64 v[8:9], v[4:5], 4, v[28:29]
	ds_read_b128 v[4:7], v12 offset:336
	s_waitcnt lgkmcnt(1)
	global_store_dwordx4 v[8:9], v[0:3], off
	v_add_u32_e32 v8, 28, v30
	v_mov_b32_e32 v9, v31
	v_add_u32_e32 v0, 21, v30
	v_mov_b32_e32 v1, v31
	v_lshl_add_u64 v[0:1], v[0:1], 4, v[28:29]
	s_waitcnt lgkmcnt(0)
	global_store_dwordx4 v[0:1], v[4:7], off
	ds_read_b128 v[0:3], v12 offset:448
	ds_read_b128 v[4:7], v12 offset:560
	v_lshl_add_u64 v[8:9], v[8:9], 4, v[28:29]
	v_add_u32_e32 v30, 35, v30
	s_waitcnt lgkmcnt(1)
	global_store_dwordx4 v[8:9], v[0:3], off
	s_nop 1
	v_lshl_add_u64 v[0:1], v[30:31], 4, v[28:29]
	s_waitcnt lgkmcnt(0)
	global_store_dwordx4 v[0:1], v[4:7], off
.LBB0_20:
	s_endpgm
	.section	.rodata,"a",@progbits
	.p2align	6, 0x0
	.amdhsa_kernel fft_rtc_back_len42_factors_7_6_wgs_252_tpt_7_halfLds_dp_ip_CI_unitstride_sbrr_C2R_dirReg
		.amdhsa_group_segment_fixed_size 0
		.amdhsa_private_segment_fixed_size 0
		.amdhsa_kernarg_size 88
		.amdhsa_user_sgpr_count 2
		.amdhsa_user_sgpr_dispatch_ptr 0
		.amdhsa_user_sgpr_queue_ptr 0
		.amdhsa_user_sgpr_kernarg_segment_ptr 1
		.amdhsa_user_sgpr_dispatch_id 0
		.amdhsa_user_sgpr_kernarg_preload_length 0
		.amdhsa_user_sgpr_kernarg_preload_offset 0
		.amdhsa_user_sgpr_private_segment_size 0
		.amdhsa_uses_dynamic_stack 0
		.amdhsa_enable_private_segment 0
		.amdhsa_system_sgpr_workgroup_id_x 1
		.amdhsa_system_sgpr_workgroup_id_y 0
		.amdhsa_system_sgpr_workgroup_id_z 0
		.amdhsa_system_sgpr_workgroup_info 0
		.amdhsa_system_vgpr_workitem_id 0
		.amdhsa_next_free_vgpr 64
		.amdhsa_next_free_sgpr 22
		.amdhsa_accum_offset 64
		.amdhsa_reserve_vcc 1
		.amdhsa_float_round_mode_32 0
		.amdhsa_float_round_mode_16_64 0
		.amdhsa_float_denorm_mode_32 3
		.amdhsa_float_denorm_mode_16_64 3
		.amdhsa_dx10_clamp 1
		.amdhsa_ieee_mode 1
		.amdhsa_fp16_overflow 0
		.amdhsa_tg_split 0
		.amdhsa_exception_fp_ieee_invalid_op 0
		.amdhsa_exception_fp_denorm_src 0
		.amdhsa_exception_fp_ieee_div_zero 0
		.amdhsa_exception_fp_ieee_overflow 0
		.amdhsa_exception_fp_ieee_underflow 0
		.amdhsa_exception_fp_ieee_inexact 0
		.amdhsa_exception_int_div_zero 0
	.end_amdhsa_kernel
	.text
.Lfunc_end0:
	.size	fft_rtc_back_len42_factors_7_6_wgs_252_tpt_7_halfLds_dp_ip_CI_unitstride_sbrr_C2R_dirReg, .Lfunc_end0-fft_rtc_back_len42_factors_7_6_wgs_252_tpt_7_halfLds_dp_ip_CI_unitstride_sbrr_C2R_dirReg
                                        ; -- End function
	.section	.AMDGPU.csdata,"",@progbits
; Kernel info:
; codeLenInByte = 3872
; NumSgprs: 28
; NumVgprs: 64
; NumAgprs: 0
; TotalNumVgprs: 64
; ScratchSize: 0
; MemoryBound: 0
; FloatMode: 240
; IeeeMode: 1
; LDSByteSize: 0 bytes/workgroup (compile time only)
; SGPRBlocks: 3
; VGPRBlocks: 7
; NumSGPRsForWavesPerEU: 28
; NumVGPRsForWavesPerEU: 64
; AccumOffset: 64
; Occupancy: 8
; WaveLimiterHint : 1
; COMPUTE_PGM_RSRC2:SCRATCH_EN: 0
; COMPUTE_PGM_RSRC2:USER_SGPR: 2
; COMPUTE_PGM_RSRC2:TRAP_HANDLER: 0
; COMPUTE_PGM_RSRC2:TGID_X_EN: 1
; COMPUTE_PGM_RSRC2:TGID_Y_EN: 0
; COMPUTE_PGM_RSRC2:TGID_Z_EN: 0
; COMPUTE_PGM_RSRC2:TIDIG_COMP_CNT: 0
; COMPUTE_PGM_RSRC3_GFX90A:ACCUM_OFFSET: 15
; COMPUTE_PGM_RSRC3_GFX90A:TG_SPLIT: 0
	.text
	.p2alignl 6, 3212836864
	.fill 256, 4, 3212836864
	.type	__hip_cuid_1c7ab1cb83a7d83b,@object ; @__hip_cuid_1c7ab1cb83a7d83b
	.section	.bss,"aw",@nobits
	.globl	__hip_cuid_1c7ab1cb83a7d83b
__hip_cuid_1c7ab1cb83a7d83b:
	.byte	0                               ; 0x0
	.size	__hip_cuid_1c7ab1cb83a7d83b, 1

	.ident	"AMD clang version 19.0.0git (https://github.com/RadeonOpenCompute/llvm-project roc-6.4.0 25133 c7fe45cf4b819c5991fe208aaa96edf142730f1d)"
	.section	".note.GNU-stack","",@progbits
	.addrsig
	.addrsig_sym __hip_cuid_1c7ab1cb83a7d83b
	.amdgpu_metadata
---
amdhsa.kernels:
  - .agpr_count:     0
    .args:
      - .actual_access:  read_only
        .address_space:  global
        .offset:         0
        .size:           8
        .value_kind:     global_buffer
      - .offset:         8
        .size:           8
        .value_kind:     by_value
      - .actual_access:  read_only
        .address_space:  global
        .offset:         16
        .size:           8
        .value_kind:     global_buffer
      - .actual_access:  read_only
        .address_space:  global
        .offset:         24
        .size:           8
        .value_kind:     global_buffer
      - .offset:         32
        .size:           8
        .value_kind:     by_value
      - .actual_access:  read_only
        .address_space:  global
        .offset:         40
        .size:           8
        .value_kind:     global_buffer
      - .actual_access:  read_only
        .address_space:  global
        .offset:         48
        .size:           8
        .value_kind:     global_buffer
      - .offset:         56
        .size:           4
        .value_kind:     by_value
      - .actual_access:  read_only
        .address_space:  global
        .offset:         64
        .size:           8
        .value_kind:     global_buffer
      - .actual_access:  read_only
        .address_space:  global
        .offset:         72
        .size:           8
        .value_kind:     global_buffer
      - .address_space:  global
        .offset:         80
        .size:           8
        .value_kind:     global_buffer
    .group_segment_fixed_size: 0
    .kernarg_segment_align: 8
    .kernarg_segment_size: 88
    .language:       OpenCL C
    .language_version:
      - 2
      - 0
    .max_flat_workgroup_size: 252
    .name:           fft_rtc_back_len42_factors_7_6_wgs_252_tpt_7_halfLds_dp_ip_CI_unitstride_sbrr_C2R_dirReg
    .private_segment_fixed_size: 0
    .sgpr_count:     28
    .sgpr_spill_count: 0
    .symbol:         fft_rtc_back_len42_factors_7_6_wgs_252_tpt_7_halfLds_dp_ip_CI_unitstride_sbrr_C2R_dirReg.kd
    .uniform_work_group_size: 1
    .uses_dynamic_stack: false
    .vgpr_count:     64
    .vgpr_spill_count: 0
    .wavefront_size: 64
amdhsa.target:   amdgcn-amd-amdhsa--gfx950
amdhsa.version:
  - 1
  - 2
...

	.end_amdgpu_metadata
